;; amdgpu-corpus repo=ROCm/rocFFT kind=compiled arch=gfx906 opt=O3
	.text
	.amdgcn_target "amdgcn-amd-amdhsa--gfx906"
	.amdhsa_code_object_version 6
	.protected	fft_rtc_back_len1320_factors_11_2_3_5_4_wgs_165_tpt_165_dp_ip_CI_unitstride_sbrr_R2C_dirReg ; -- Begin function fft_rtc_back_len1320_factors_11_2_3_5_4_wgs_165_tpt_165_dp_ip_CI_unitstride_sbrr_R2C_dirReg
	.globl	fft_rtc_back_len1320_factors_11_2_3_5_4_wgs_165_tpt_165_dp_ip_CI_unitstride_sbrr_R2C_dirReg
	.p2align	8
	.type	fft_rtc_back_len1320_factors_11_2_3_5_4_wgs_165_tpt_165_dp_ip_CI_unitstride_sbrr_R2C_dirReg,@function
fft_rtc_back_len1320_factors_11_2_3_5_4_wgs_165_tpt_165_dp_ip_CI_unitstride_sbrr_R2C_dirReg: ; @fft_rtc_back_len1320_factors_11_2_3_5_4_wgs_165_tpt_165_dp_ip_CI_unitstride_sbrr_R2C_dirReg
; %bb.0:
	s_load_dwordx2 s[2:3], s[4:5], 0x50
	s_load_dwordx4 s[8:11], s[4:5], 0x0
	s_load_dwordx2 s[12:13], s[4:5], 0x18
	v_mul_u32_u24_e32 v1, 0x18e, v0
	v_add_u32_sdwa v5, s6, v1 dst_sel:DWORD dst_unused:UNUSED_PAD src0_sel:DWORD src1_sel:WORD_1
	v_mov_b32_e32 v3, 0
	s_waitcnt lgkmcnt(0)
	v_cmp_lt_u64_e64 s[0:1], s[10:11], 2
	v_mov_b32_e32 v1, 0
	v_mov_b32_e32 v6, v3
	s_and_b64 vcc, exec, s[0:1]
	v_mov_b32_e32 v2, 0
	s_cbranch_vccnz .LBB0_8
; %bb.1:
	s_load_dwordx2 s[0:1], s[4:5], 0x10
	s_add_u32 s6, s12, 8
	s_addc_u32 s7, s13, 0
	v_mov_b32_e32 v1, 0
	v_mov_b32_e32 v2, 0
	s_waitcnt lgkmcnt(0)
	s_add_u32 s14, s0, 8
	s_addc_u32 s15, s1, 0
	s_mov_b64 s[16:17], 1
.LBB0_2:                                ; =>This Inner Loop Header: Depth=1
	s_load_dwordx2 s[18:19], s[14:15], 0x0
                                        ; implicit-def: $vgpr7_vgpr8
	s_waitcnt lgkmcnt(0)
	v_or_b32_e32 v4, s19, v6
	v_cmp_ne_u64_e32 vcc, 0, v[3:4]
	s_and_saveexec_b64 s[0:1], vcc
	s_xor_b64 s[20:21], exec, s[0:1]
	s_cbranch_execz .LBB0_4
; %bb.3:                                ;   in Loop: Header=BB0_2 Depth=1
	v_cvt_f32_u32_e32 v4, s18
	v_cvt_f32_u32_e32 v7, s19
	s_sub_u32 s0, 0, s18
	s_subb_u32 s1, 0, s19
	v_mac_f32_e32 v4, 0x4f800000, v7
	v_rcp_f32_e32 v4, v4
	v_mul_f32_e32 v4, 0x5f7ffffc, v4
	v_mul_f32_e32 v7, 0x2f800000, v4
	v_trunc_f32_e32 v7, v7
	v_mac_f32_e32 v4, 0xcf800000, v7
	v_cvt_u32_f32_e32 v7, v7
	v_cvt_u32_f32_e32 v4, v4
	v_mul_lo_u32 v8, s0, v7
	v_mul_hi_u32 v9, s0, v4
	v_mul_lo_u32 v11, s1, v4
	v_mul_lo_u32 v10, s0, v4
	v_add_u32_e32 v8, v9, v8
	v_add_u32_e32 v8, v8, v11
	v_mul_hi_u32 v9, v4, v10
	v_mul_lo_u32 v11, v4, v8
	v_mul_hi_u32 v13, v4, v8
	v_mul_hi_u32 v12, v7, v10
	v_mul_lo_u32 v10, v7, v10
	v_mul_hi_u32 v14, v7, v8
	v_add_co_u32_e32 v9, vcc, v9, v11
	v_addc_co_u32_e32 v11, vcc, 0, v13, vcc
	v_mul_lo_u32 v8, v7, v8
	v_add_co_u32_e32 v9, vcc, v9, v10
	v_addc_co_u32_e32 v9, vcc, v11, v12, vcc
	v_addc_co_u32_e32 v10, vcc, 0, v14, vcc
	v_add_co_u32_e32 v8, vcc, v9, v8
	v_addc_co_u32_e32 v9, vcc, 0, v10, vcc
	v_add_co_u32_e32 v4, vcc, v4, v8
	v_addc_co_u32_e32 v7, vcc, v7, v9, vcc
	v_mul_lo_u32 v8, s0, v7
	v_mul_hi_u32 v9, s0, v4
	v_mul_lo_u32 v10, s1, v4
	v_mul_lo_u32 v11, s0, v4
	v_add_u32_e32 v8, v9, v8
	v_add_u32_e32 v8, v8, v10
	v_mul_lo_u32 v12, v4, v8
	v_mul_hi_u32 v13, v4, v11
	v_mul_hi_u32 v14, v4, v8
	;; [unrolled: 1-line block ×3, first 2 shown]
	v_mul_lo_u32 v11, v7, v11
	v_mul_hi_u32 v9, v7, v8
	v_add_co_u32_e32 v12, vcc, v13, v12
	v_addc_co_u32_e32 v13, vcc, 0, v14, vcc
	v_mul_lo_u32 v8, v7, v8
	v_add_co_u32_e32 v11, vcc, v12, v11
	v_addc_co_u32_e32 v10, vcc, v13, v10, vcc
	v_addc_co_u32_e32 v9, vcc, 0, v9, vcc
	v_add_co_u32_e32 v8, vcc, v10, v8
	v_addc_co_u32_e32 v9, vcc, 0, v9, vcc
	v_add_co_u32_e32 v4, vcc, v4, v8
	v_addc_co_u32_e32 v9, vcc, v7, v9, vcc
	v_mad_u64_u32 v[7:8], s[0:1], v5, v9, 0
	v_mul_hi_u32 v10, v5, v4
	v_add_co_u32_e32 v11, vcc, v10, v7
	v_addc_co_u32_e32 v12, vcc, 0, v8, vcc
	v_mad_u64_u32 v[7:8], s[0:1], v6, v4, 0
	v_mad_u64_u32 v[9:10], s[0:1], v6, v9, 0
	v_add_co_u32_e32 v4, vcc, v11, v7
	v_addc_co_u32_e32 v4, vcc, v12, v8, vcc
	v_addc_co_u32_e32 v7, vcc, 0, v10, vcc
	v_add_co_u32_e32 v4, vcc, v4, v9
	v_addc_co_u32_e32 v9, vcc, 0, v7, vcc
	v_mul_lo_u32 v10, s19, v4
	v_mul_lo_u32 v11, s18, v9
	v_mad_u64_u32 v[7:8], s[0:1], s18, v4, 0
	v_add3_u32 v8, v8, v11, v10
	v_sub_u32_e32 v10, v6, v8
	v_mov_b32_e32 v11, s19
	v_sub_co_u32_e32 v7, vcc, v5, v7
	v_subb_co_u32_e64 v10, s[0:1], v10, v11, vcc
	v_subrev_co_u32_e64 v11, s[0:1], s18, v7
	v_subbrev_co_u32_e64 v10, s[0:1], 0, v10, s[0:1]
	v_cmp_le_u32_e64 s[0:1], s19, v10
	v_cndmask_b32_e64 v12, 0, -1, s[0:1]
	v_cmp_le_u32_e64 s[0:1], s18, v11
	v_cndmask_b32_e64 v11, 0, -1, s[0:1]
	v_cmp_eq_u32_e64 s[0:1], s19, v10
	v_cndmask_b32_e64 v10, v12, v11, s[0:1]
	v_add_co_u32_e64 v11, s[0:1], 2, v4
	v_addc_co_u32_e64 v12, s[0:1], 0, v9, s[0:1]
	v_add_co_u32_e64 v13, s[0:1], 1, v4
	v_addc_co_u32_e64 v14, s[0:1], 0, v9, s[0:1]
	v_subb_co_u32_e32 v8, vcc, v6, v8, vcc
	v_cmp_ne_u32_e64 s[0:1], 0, v10
	v_cmp_le_u32_e32 vcc, s19, v8
	v_cndmask_b32_e64 v10, v14, v12, s[0:1]
	v_cndmask_b32_e64 v12, 0, -1, vcc
	v_cmp_le_u32_e32 vcc, s18, v7
	v_cndmask_b32_e64 v7, 0, -1, vcc
	v_cmp_eq_u32_e32 vcc, s19, v8
	v_cndmask_b32_e32 v7, v12, v7, vcc
	v_cmp_ne_u32_e32 vcc, 0, v7
	v_cndmask_b32_e64 v7, v13, v11, s[0:1]
	v_cndmask_b32_e32 v8, v9, v10, vcc
	v_cndmask_b32_e32 v7, v4, v7, vcc
.LBB0_4:                                ;   in Loop: Header=BB0_2 Depth=1
	s_andn2_saveexec_b64 s[0:1], s[20:21]
	s_cbranch_execz .LBB0_6
; %bb.5:                                ;   in Loop: Header=BB0_2 Depth=1
	v_cvt_f32_u32_e32 v4, s18
	s_sub_i32 s20, 0, s18
	v_rcp_iflag_f32_e32 v4, v4
	v_mul_f32_e32 v4, 0x4f7ffffe, v4
	v_cvt_u32_f32_e32 v4, v4
	v_mul_lo_u32 v7, s20, v4
	v_mul_hi_u32 v7, v4, v7
	v_add_u32_e32 v4, v4, v7
	v_mul_hi_u32 v4, v5, v4
	v_mul_lo_u32 v7, v4, s18
	v_add_u32_e32 v8, 1, v4
	v_sub_u32_e32 v7, v5, v7
	v_subrev_u32_e32 v9, s18, v7
	v_cmp_le_u32_e32 vcc, s18, v7
	v_cndmask_b32_e32 v7, v7, v9, vcc
	v_cndmask_b32_e32 v4, v4, v8, vcc
	v_add_u32_e32 v8, 1, v4
	v_cmp_le_u32_e32 vcc, s18, v7
	v_cndmask_b32_e32 v7, v4, v8, vcc
	v_mov_b32_e32 v8, v3
.LBB0_6:                                ;   in Loop: Header=BB0_2 Depth=1
	s_or_b64 exec, exec, s[0:1]
	v_mul_lo_u32 v4, v8, s18
	v_mul_lo_u32 v11, v7, s19
	v_mad_u64_u32 v[9:10], s[0:1], v7, s18, 0
	s_load_dwordx2 s[0:1], s[6:7], 0x0
	s_add_u32 s16, s16, 1
	v_add3_u32 v4, v10, v11, v4
	v_sub_co_u32_e32 v5, vcc, v5, v9
	v_subb_co_u32_e32 v4, vcc, v6, v4, vcc
	s_waitcnt lgkmcnt(0)
	v_mul_lo_u32 v4, s0, v4
	v_mul_lo_u32 v6, s1, v5
	v_mad_u64_u32 v[1:2], s[0:1], s0, v5, v[1:2]
	s_addc_u32 s17, s17, 0
	s_add_u32 s6, s6, 8
	v_add3_u32 v2, v6, v2, v4
	v_mov_b32_e32 v4, s10
	v_mov_b32_e32 v5, s11
	s_addc_u32 s7, s7, 0
	v_cmp_ge_u64_e32 vcc, s[16:17], v[4:5]
	s_add_u32 s14, s14, 8
	s_addc_u32 s15, s15, 0
	s_cbranch_vccnz .LBB0_9
; %bb.7:                                ;   in Loop: Header=BB0_2 Depth=1
	v_mov_b32_e32 v5, v7
	v_mov_b32_e32 v6, v8
	s_branch .LBB0_2
.LBB0_8:
	v_mov_b32_e32 v8, v6
	v_mov_b32_e32 v7, v5
.LBB0_9:
	s_lshl_b64 s[0:1], s[10:11], 3
	s_add_u32 s0, s12, s0
	s_addc_u32 s1, s13, s1
	s_load_dwordx2 s[6:7], s[0:1], 0x0
	s_load_dwordx2 s[10:11], s[4:5], 0x20
	s_waitcnt lgkmcnt(0)
	v_mad_u64_u32 v[1:2], s[0:1], s6, v7, v[1:2]
	s_mov_b32 s0, 0x18d3019
	v_mul_lo_u32 v3, s6, v8
	v_mul_lo_u32 v4, s7, v7
	v_mul_hi_u32 v5, v0, s0
	v_cmp_gt_u64_e64 s[0:1], s[10:11], v[7:8]
	v_add3_u32 v2, v4, v2, v3
	v_mul_u32_u24_e32 v3, 0xa5, v5
	v_sub_u32_e32 v52, v0, v3
	v_lshlrev_b64 v[54:55], 4, v[1:2]
	v_lshl_add_u32 v136, v52, 4, 0
	s_and_saveexec_b64 s[4:5], s[0:1]
	s_cbranch_execz .LBB0_11
; %bb.10:
	v_mov_b32_e32 v53, 0
	v_mov_b32_e32 v0, s3
	v_add_co_u32_e32 v2, vcc, s2, v54
	v_addc_co_u32_e32 v3, vcc, v0, v55, vcc
	v_lshlrev_b64 v[0:1], 4, v[52:53]
	v_add_co_u32_e32 v23, vcc, v2, v0
	v_addc_co_u32_e32 v24, vcc, v3, v1, vcc
	v_add_co_u32_e32 v16, vcc, 0x1000, v23
	v_addc_co_u32_e32 v17, vcc, 0, v24, vcc
	;; [unrolled: 2-line block ×4, first 2 shown]
	v_add_co_u32_e32 v34, vcc, 0x4000, v23
	global_load_dwordx4 v[0:3], v[23:24], off
	global_load_dwordx4 v[4:7], v[23:24], off offset:2640
	global_load_dwordx4 v[8:11], v[16:17], off offset:1184
	;; [unrolled: 1-line block ×3, first 2 shown]
	s_nop 0
	global_load_dwordx4 v[16:19], v[25:26], off offset:2368
	global_load_dwordx4 v[20:23], v[32:33], off offset:912
	v_addc_co_u32_e32 v35, vcc, 0, v24, vcc
	global_load_dwordx4 v[24:27], v[32:33], off offset:3552
	global_load_dwordx4 v[28:31], v[34:35], off offset:2096
	s_waitcnt vmcnt(7)
	ds_write_b128 v136, v[0:3]
	s_waitcnt vmcnt(6)
	ds_write_b128 v136, v[4:7] offset:2640
	s_waitcnt vmcnt(5)
	ds_write_b128 v136, v[8:11] offset:5280
	;; [unrolled: 2-line block ×7, first 2 shown]
.LBB0_11:
	s_or_b64 exec, exec, s[4:5]
	s_waitcnt lgkmcnt(0)
	s_barrier
	ds_read_b128 v[8:11], v136 offset:19200
	ds_read_b128 v[12:15], v136 offset:1920
	ds_read_b128 v[20:23], v136
	ds_read_b128 v[16:19], v136 offset:17280
	ds_read_b128 v[32:35], v136 offset:3840
	s_mov_b32 s10, 0x8eee2c13
	s_waitcnt lgkmcnt(3)
	v_add_f64 v[60:61], v[14:15], -v[10:11]
	v_add_f64 v[58:59], v[14:15], v[10:11]
	s_mov_b32 s4, 0xd9c712b6
	s_mov_b32 s18, 0x640f44db
	s_mov_b32 s22, 0x43842ef
	s_mov_b32 s11, 0xbfed1bb4
	s_mov_b32 s5, 0x3fda9628
	s_mov_b32 s19, 0xbfc2375f
	s_mov_b32 s23, 0xbfefac9e
	v_add_f64 v[56:57], v[12:13], v[8:9]
	v_mul_f64 v[86:87], v[60:61], s[10:11]
	s_waitcnt lgkmcnt(0)
	v_add_f64 v[66:67], v[34:35], -v[18:19]
	v_add_f64 v[84:85], v[12:13], -v[8:9]
	v_mul_f64 v[98:99], v[58:59], s[4:5]
	v_add_f64 v[64:65], v[34:35], v[18:19]
	v_mul_f64 v[116:117], v[60:61], s[22:23]
	v_mul_f64 v[128:129], v[58:59], s[18:19]
	ds_read_b128 v[28:31], v136 offset:5760
	ds_read_b128 v[24:27], v136 offset:15360
	s_mov_b32 s6, 0x7f775887
	s_mov_b32 s14, 0xbb3a28a1
	;; [unrolled: 1-line block ×8, first 2 shown]
	v_fma_f64 v[0:1], v[56:57], s[4:5], -v[86:87]
	v_add_f64 v[62:63], v[32:33], v[16:17]
	v_mul_f64 v[88:89], v[66:67], s[14:15]
	v_fma_f64 v[2:3], v[84:85], s[10:11], v[98:99]
	v_add_f64 v[74:75], v[32:33], -v[16:17]
	v_mul_f64 v[100:101], v[64:65], s[6:7]
	s_waitcnt lgkmcnt(0)
	v_add_f64 v[72:73], v[30:31], -v[26:27]
	v_add_f64 v[70:71], v[30:31], v[26:27]
	v_fma_f64 v[102:103], v[56:57], s[18:19], -v[116:117]
	v_mul_f64 v[122:123], v[66:67], s[16:17]
	v_fma_f64 v[108:109], v[84:85], s[22:23], v[128:129]
	v_mul_f64 v[132:133], v[64:65], s[12:13]
	ds_read_b128 v[36:39], v136 offset:13440
	ds_read_b128 v[40:43], v136 offset:7680
	s_mov_b32 s31, 0x3fed1bb4
	s_mov_b32 s30, s10
	v_add_f64 v[0:1], v[20:21], v[0:1]
	v_fma_f64 v[4:5], v[62:63], s[6:7], -v[88:89]
	v_add_f64 v[2:3], v[22:23], v[2:3]
	v_fma_f64 v[6:7], v[74:75], s[14:15], v[100:101]
	v_add_f64 v[68:69], v[28:29], v[24:25]
	v_mul_f64 v[78:79], v[72:73], s[16:17]
	v_add_f64 v[76:77], v[28:29], -v[24:25]
	v_mul_f64 v[106:107], v[70:71], s[12:13]
	s_waitcnt lgkmcnt(0)
	v_add_f64 v[90:91], v[42:43], -v[38:39]
	v_add_f64 v[82:83], v[42:43], v[38:39]
	v_add_f64 v[102:103], v[20:21], v[102:103]
	v_fma_f64 v[110:111], v[62:63], s[12:13], -v[122:123]
	v_add_f64 v[108:109], v[22:23], v[108:109]
	v_fma_f64 v[114:115], v[74:75], s[16:17], v[132:133]
	v_mul_f64 v[120:121], v[72:73], s[30:31]
	v_mul_f64 v[126:127], v[70:71], s[4:5]
	ds_read_b128 v[44:47], v136 offset:9600
	ds_read_b128 v[48:51], v136 offset:11520
	s_mov_b32 s24, 0x8764f0ba
	s_mov_b32 s26, 0xf8bb580b
	;; [unrolled: 1-line block ×6, first 2 shown]
	v_add_f64 v[0:1], v[4:5], v[0:1]
	v_add_f64 v[2:3], v[6:7], v[2:3]
	v_fma_f64 v[4:5], v[68:69], s[12:13], -v[78:79]
	v_fma_f64 v[6:7], v[76:77], s[16:17], v[106:107]
	v_add_f64 v[80:81], v[40:41], v[36:37]
	v_mul_f64 v[96:97], v[90:91], s[28:29]
	v_add_f64 v[94:95], v[40:41], -v[36:37]
	v_mul_f64 v[112:113], v[82:83], s[18:19]
	s_waitcnt lgkmcnt(0)
	v_add_f64 v[104:105], v[46:47], -v[50:51]
	v_add_f64 v[92:93], v[46:47], v[50:51]
	v_add_f64 v[118:119], v[110:111], v[102:103]
	;; [unrolled: 1-line block ×3, first 2 shown]
	v_fma_f64 v[137:138], v[68:69], s[4:5], -v[120:121]
	v_fma_f64 v[139:140], v[76:77], s[30:31], v[126:127]
	v_mul_f64 v[124:125], v[90:91], s[26:27]
	v_mul_f64 v[134:135], v[82:83], s[24:25]
	s_mov_b32 s35, 0x3fe14ced
	s_mov_b32 s34, s26
	v_add_f64 v[0:1], v[4:5], v[0:1]
	v_add_f64 v[2:3], v[6:7], v[2:3]
	v_fma_f64 v[4:5], v[80:81], s[18:19], -v[96:97]
	v_fma_f64 v[6:7], v[94:95], s[28:29], v[112:113]
	v_add_f64 v[102:103], v[44:45], v[48:49]
	v_mul_f64 v[110:111], v[104:105], s[34:35]
	v_add_f64 v[108:109], v[44:45], -v[48:49]
	v_mul_f64 v[114:115], v[92:93], s[24:25]
	v_add_f64 v[137:138], v[137:138], v[118:119]
	v_add_f64 v[139:140], v[139:140], v[130:131]
	v_fma_f64 v[141:142], v[80:81], s[24:25], -v[124:125]
	v_fma_f64 v[143:144], v[94:95], s[26:27], v[134:135]
	v_mul_f64 v[118:119], v[104:105], s[14:15]
	v_mul_f64 v[130:131], v[92:93], s[6:7]
	v_add_f64 v[0:1], v[4:5], v[0:1]
	v_add_f64 v[2:3], v[6:7], v[2:3]
	v_fma_f64 v[4:5], v[102:103], s[24:25], -v[110:111]
	v_fma_f64 v[6:7], v[108:109], s[34:35], v[114:115]
	v_add_f64 v[137:138], v[141:142], v[137:138]
	v_add_f64 v[139:140], v[143:144], v[139:140]
	v_fma_f64 v[141:142], v[102:103], s[6:7], -v[118:119]
	v_fma_f64 v[143:144], v[108:109], s[14:15], v[130:131]
	s_movk_i32 s20, 0x78
	v_cmp_gt_u32_e32 vcc, s20, v52
	v_add_f64 v[0:1], v[4:5], v[0:1]
	v_add_f64 v[2:3], v[6:7], v[2:3]
	s_barrier
	v_add_f64 v[4:5], v[141:142], v[137:138]
	v_add_f64 v[6:7], v[143:144], v[139:140]
	s_and_saveexec_b64 s[20:21], vcc
	s_cbranch_execz .LBB0_13
; %bb.12:
	v_mul_f64 v[159:160], v[74:75], s[16:17]
	v_mul_f64 v[161:162], v[76:77], s[16:17]
	s_mov_b32 s17, 0xbfd207e7
	v_mul_f64 v[137:138], v[84:85], s[16:17]
	v_mul_f64 v[139:140], v[60:61], s[16:17]
	;; [unrolled: 1-line block ×8, first 2 shown]
	v_fma_f64 v[143:144], v[58:59], s[12:13], v[137:138]
	v_fma_f64 v[179:180], v[56:57], s[12:13], -v[139:140]
	v_fma_f64 v[183:184], v[64:65], s[24:25], v[141:142]
	v_fma_f64 v[137:138], v[58:59], s[12:13], -v[137:138]
	v_fma_f64 v[189:190], v[62:63], s[24:25], -v[147:148]
	v_fma_f64 v[193:194], v[70:71], s[6:7], v[181:182]
	v_fma_f64 v[141:142], v[64:65], s[24:25], -v[141:142]
	v_fma_f64 v[195:196], v[68:69], s[6:7], -v[187:188]
	v_add_f64 v[143:144], v[22:23], v[143:144]
	v_add_f64 v[179:180], v[20:21], v[179:180]
	v_fma_f64 v[197:198], v[82:83], s[4:5], v[191:192]
	v_add_f64 v[137:138], v[22:23], v[137:138]
	v_fma_f64 v[181:182], v[70:71], s[6:7], -v[181:182]
	v_fma_f64 v[191:192], v[82:83], s[4:5], -v[191:192]
	v_fma_f64 v[203:204], v[56:57], s[12:13], v[139:140]
	v_fma_f64 v[147:148], v[62:63], s[24:25], v[147:148]
	v_add_f64 v[143:144], v[183:184], v[143:144]
	v_mul_f64 v[183:184], v[90:91], s[30:31]
	v_add_f64 v[179:180], v[189:190], v[179:180]
	v_mul_f64 v[189:190], v[108:109], s[22:23]
	;; [unrolled: 2-line block ×3, first 2 shown]
	v_add_f64 v[203:204], v[20:21], v[203:204]
	v_fma_f64 v[187:188], v[68:69], s[6:7], v[187:188]
	v_add_f64 v[143:144], v[193:194], v[143:144]
	v_fma_f64 v[193:194], v[80:81], s[4:5], -v[183:184]
	v_add_f64 v[179:180], v[195:196], v[179:180]
	v_fma_f64 v[201:202], v[92:93], s[18:19], v[189:190]
	v_add_f64 v[137:138], v[181:182], v[137:138]
	v_fma_f64 v[181:182], v[102:103], s[18:19], -v[141:142]
	v_fma_f64 v[189:190], v[92:93], s[18:19], -v[189:190]
	v_add_f64 v[147:148], v[147:148], v[203:204]
	v_add_f64 v[143:144], v[197:198], v[143:144]
	v_mul_f64 v[197:198], v[84:85], s[14:15]
	v_add_f64 v[179:180], v[193:194], v[179:180]
	v_mul_f64 v[211:212], v[94:95], s[16:17]
	v_add_f64 v[191:192], v[191:192], v[137:138]
	v_fma_f64 v[213:214], v[70:71], s[24:25], v[205:206]
	v_fma_f64 v[183:184], v[80:81], s[4:5], v[183:184]
	v_add_f64 v[147:148], v[187:188], v[147:148]
	v_add_f64 v[139:140], v[201:202], v[143:144]
	v_mul_f64 v[201:202], v[60:61], s[14:15]
	v_add_f64 v[137:138], v[181:182], v[179:180]
	v_mul_f64 v[179:180], v[74:75], s[28:29]
	v_fma_f64 v[181:182], v[58:59], s[6:7], v[197:198]
	v_add_f64 v[143:144], v[189:190], v[191:192]
	v_mul_f64 v[189:190], v[66:67], s[28:29]
	v_fma_f64 v[215:216], v[82:83], s[12:13], v[211:212]
	v_mul_f64 v[145:146], v[84:85], s[22:23]
	v_fma_f64 v[191:192], v[56:57], s[6:7], -v[201:202]
	v_fma_f64 v[141:142], v[102:103], s[18:19], v[141:142]
	v_fma_f64 v[207:208], v[64:65], s[18:19], v[179:180]
	v_add_f64 v[181:182], v[22:23], v[181:182]
	v_add_f64 v[147:148], v[183:184], v[147:148]
	v_fma_f64 v[209:210], v[62:63], s[18:19], -v[189:190]
	v_fma_f64 v[201:202], v[56:57], s[6:7], v[201:202]
	v_mul_f64 v[153:154], v[56:57], s[18:19]
	v_add_f64 v[191:192], v[20:21], v[191:192]
	v_mul_f64 v[203:204], v[72:73], s[26:27]
	v_add_f64 v[128:129], v[128:129], -v[145:146]
	v_add_f64 v[181:182], v[207:208], v[181:182]
	v_add_f64 v[141:142], v[141:142], v[147:148]
	;; [unrolled: 1-line block ×4, first 2 shown]
	v_mul_f64 v[151:152], v[84:85], s[10:11]
	v_add_f64 v[191:192], v[209:210], v[191:192]
	v_mul_f64 v[209:210], v[108:109], s[30:31]
	v_mul_f64 v[163:164], v[62:63], s[12:13]
	v_add_f64 v[181:182], v[213:214], v[181:182]
	v_mul_f64 v[169:170], v[76:77], s[30:31]
	v_mul_f64 v[187:188], v[90:91], s[16:17]
	v_add_f64 v[132:133], v[132:133], -v[159:160]
	v_add_f64 v[128:129], v[22:23], v[128:129]
	v_add_f64 v[116:117], v[153:154], v[116:117]
	v_fma_f64 v[183:184], v[92:93], s[4:5], v[209:210]
	v_fma_f64 v[153:154], v[68:69], s[24:25], v[203:204]
	v_add_f64 v[181:182], v[215:216], v[181:182]
	v_add_f64 v[14:15], v[14:15], v[34:35]
	;; [unrolled: 1-line block ×3, first 2 shown]
	v_mul_f64 v[157:158], v[74:75], s[14:15]
	v_mul_f64 v[167:168], v[68:69], s[4:5]
	;; [unrolled: 1-line block ×3, first 2 shown]
	v_add_f64 v[126:127], v[126:127], -v[169:170]
	v_add_f64 v[128:129], v[132:133], v[128:129]
	v_add_f64 v[147:148], v[183:184], v[181:182]
	v_fma_f64 v[183:184], v[62:63], s[18:19], v[189:190]
	v_add_f64 v[189:190], v[20:21], v[201:202]
	v_add_f64 v[122:123], v[163:164], v[122:123]
	;; [unrolled: 1-line block ×3, first 2 shown]
	v_fma_f64 v[132:133], v[80:81], s[12:13], v[187:188]
	v_add_f64 v[98:99], v[98:99], -v[151:152]
	v_add_f64 v[14:15], v[14:15], v[30:31]
	v_add_f64 v[28:29], v[32:33], v[28:29]
	v_mul_f64 v[149:150], v[56:57], s[4:5]
	v_add_f64 v[183:184], v[183:184], v[189:190]
	v_add_f64 v[126:127], v[126:127], v[128:129]
	;; [unrolled: 1-line block ×4, first 2 shown]
	v_fma_f64 v[122:123], v[102:103], s[4:5], v[213:214]
	v_add_f64 v[151:152], v[22:23], v[98:99]
	v_add_f64 v[14:15], v[14:15], v[42:43]
	;; [unrolled: 1-line block ×4, first 2 shown]
	v_mul_f64 v[155:156], v[62:63], s[6:7]
	v_mul_f64 v[173:174], v[94:95], s[28:29]
	v_add_f64 v[116:117], v[120:121], v[116:117]
	v_add_f64 v[106:107], v[106:107], -v[161:162]
	v_add_f64 v[120:121], v[149:150], v[86:87]
	v_mul_f64 v[84:85], v[84:85], s[26:27]
	v_mul_f64 v[40:41], v[60:61], s[26:27]
	v_add_f64 v[128:129], v[132:133], v[153:154]
	v_add_f64 v[132:133], v[100:101], -v[157:158]
	v_add_f64 v[14:15], v[14:15], v[46:47]
	v_add_f64 v[28:29], v[28:29], v[44:45]
	v_mul_f64 v[165:166], v[68:69], s[12:13]
	v_fma_f64 v[197:198], v[58:59], s[6:7], -v[197:198]
	v_add_f64 v[112:113], v[112:113], -v[173:174]
	v_add_f64 v[88:89], v[155:156], v[88:89]
	v_add_f64 v[98:99], v[122:123], v[128:129]
	;; [unrolled: 1-line block ×4, first 2 shown]
	v_mul_f64 v[74:75], v[74:75], s[10:11]
	v_mul_f64 v[60:61], v[66:67], s[10:11]
	v_fma_f64 v[44:45], v[56:57], s[24:25], v[40:41]
	v_fma_f64 v[40:41], v[56:57], s[24:25], -v[40:41]
	v_add_f64 v[14:15], v[14:15], v[50:51]
	v_add_f64 v[28:29], v[28:29], v[48:49]
	;; [unrolled: 1-line block ×3, first 2 shown]
	v_fma_f64 v[122:123], v[58:59], s[24:25], v[84:85]
	v_fma_f64 v[58:59], v[58:59], s[24:25], -v[84:85]
	v_add_f64 v[197:198], v[22:23], v[197:198]
	v_add_f64 v[78:79], v[165:166], v[78:79]
	;; [unrolled: 1-line block ×3, first 2 shown]
	v_mul_f64 v[76:77], v[76:77], s[22:23]
	v_fma_f64 v[34:35], v[64:65], s[4:5], v[74:75]
	v_add_f64 v[106:107], v[112:113], v[106:107]
	v_add_f64 v[112:113], v[22:23], v[122:123]
	v_mul_f64 v[46:47], v[72:73], s[22:23]
	v_fma_f64 v[56:57], v[64:65], s[4:5], -v[74:75]
	v_add_f64 v[22:23], v[22:23], v[58:59]
	v_fma_f64 v[58:59], v[62:63], s[4:5], v[60:61]
	v_add_f64 v[44:45], v[20:21], v[44:45]
	v_fma_f64 v[179:180], v[64:65], s[18:19], -v[179:180]
	v_mul_f64 v[171:172], v[80:81], s[18:19]
	v_fma_f64 v[48:49], v[62:63], s[4:5], -v[60:61]
	v_add_f64 v[20:21], v[20:21], v[40:41]
	v_add_f64 v[14:15], v[14:15], v[38:39]
	;; [unrolled: 1-line block ×4, first 2 shown]
	v_mul_f64 v[88:89], v[94:95], s[14:15]
	v_fma_f64 v[30:31], v[70:71], s[18:19], v[76:77]
	v_add_f64 v[32:33], v[34:35], v[112:113]
	v_mul_f64 v[42:43], v[90:91], s[14:15]
	v_fma_f64 v[40:41], v[70:71], s[18:19], -v[76:77]
	v_add_f64 v[22:23], v[56:57], v[22:23]
	v_fma_f64 v[50:51], v[68:69], s[18:19], v[46:47]
	v_add_f64 v[36:37], v[58:59], v[44:45]
	v_mul_f64 v[175:176], v[80:81], s[24:25]
	v_mul_f64 v[177:178], v[94:95], s[26:27]
	v_fma_f64 v[181:182], v[70:71], s[24:25], -v[205:206]
	v_add_f64 v[179:180], v[179:180], v[197:198]
	v_fma_f64 v[207:208], v[68:69], s[24:25], -v[203:204]
	v_add_f64 v[96:97], v[171:172], v[96:97]
	;; [unrolled: 2-line block ×3, first 2 shown]
	v_add_f64 v[14:15], v[14:15], v[26:27]
	v_add_f64 v[24:25], v[28:29], v[24:25]
	v_mul_f64 v[94:95], v[108:109], s[16:17]
	v_add_f64 v[30:31], v[30:31], v[32:33]
	v_mul_f64 v[32:33], v[104:105], s[16:17]
	v_fma_f64 v[44:45], v[82:83], s[6:7], -v[88:89]
	v_add_f64 v[22:23], v[40:41], v[22:23]
	v_fma_f64 v[40:41], v[80:81], s[6:7], v[42:43]
	v_add_f64 v[26:27], v[50:51], v[36:37]
	v_mul_f64 v[185:186], v[102:103], s[24:25]
	v_mul_f64 v[195:196], v[108:109], s[34:35]
	v_mul_f64 v[199:200], v[102:103], s[6:7]
	v_mul_f64 v[193:194], v[108:109], s[14:15]
	v_add_f64 v[134:135], v[134:135], -v[177:178]
	v_add_f64 v[124:125], v[175:176], v[124:125]
	v_fma_f64 v[159:160], v[82:83], s[12:13], -v[211:212]
	v_add_f64 v[179:180], v[181:182], v[179:180]
	v_fma_f64 v[217:218], v[80:81], s[12:13], -v[187:188]
	v_add_f64 v[191:192], v[207:208], v[191:192]
	v_add_f64 v[78:79], v[96:97], v[78:79]
	v_fma_f64 v[96:97], v[82:83], s[6:7], v[88:89]
	v_fma_f64 v[28:29], v[80:81], s[6:7], -v[42:43]
	v_add_f64 v[20:21], v[38:39], v[20:21]
	v_add_f64 v[14:15], v[14:15], v[18:19]
	;; [unrolled: 1-line block ×3, first 2 shown]
	v_fma_f64 v[36:37], v[92:93], s[12:13], -v[94:95]
	v_add_f64 v[22:23], v[44:45], v[22:23]
	v_fma_f64 v[38:39], v[102:103], s[12:13], v[32:33]
	v_add_f64 v[24:25], v[40:41], v[26:27]
	v_add_f64 v[114:115], v[114:115], -v[195:196]
	v_add_f64 v[34:35], v[185:186], v[110:111]
	v_add_f64 v[130:131], v[130:131], -v[193:194]
	v_add_f64 v[126:127], v[134:135], v[126:127]
	v_add_f64 v[118:119], v[199:200], v[118:119]
	;; [unrolled: 1-line block ×3, first 2 shown]
	v_fma_f64 v[181:182], v[92:93], s[4:5], -v[209:210]
	v_add_f64 v[159:160], v[159:160], v[179:180]
	v_fma_f64 v[207:208], v[102:103], s[4:5], -v[213:214]
	v_add_f64 v[191:192], v[217:218], v[191:192]
	v_fma_f64 v[26:27], v[92:93], s[12:13], v[94:95]
	v_add_f64 v[30:31], v[96:97], v[30:31]
	v_fma_f64 v[32:33], v[102:103], s[12:13], -v[32:33]
	v_add_f64 v[28:29], v[28:29], v[20:21]
	v_add_f64 v[20:21], v[14:15], v[10:11]
	;; [unrolled: 1-line block ×10, first 2 shown]
	s_movk_i32 s4, 0xa0
	v_add_f64 v[145:146], v[207:208], v[191:192]
	v_mad_u32_u24 v8, v52, s4, v136
	v_add_f64 v[24:25], v[26:27], v[30:31]
	v_add_f64 v[22:23], v[32:33], v[28:29]
	ds_write_b128 v8, v[18:21]
	ds_write_b128 v8, v[14:17] offset:16
	ds_write_b128 v8, v[10:13] offset:32
	ds_write_b128 v8, v[84:87] offset:48
	ds_write_b128 v8, v[98:101] offset:64
	ds_write_b128 v8, v[141:144] offset:80
	ds_write_b128 v8, v[137:140] offset:96
	ds_write_b128 v8, v[145:148] offset:112
	ds_write_b128 v8, v[4:7] offset:128
	ds_write_b128 v8, v[0:3] offset:144
	ds_write_b128 v8, v[22:25] offset:160
.LBB0_13:
	s_or_b64 exec, exec, s[20:21]
	s_movk_i32 s4, 0x75
	v_mul_lo_u16_sdwa v8, v52, s4 dst_sel:DWORD dst_unused:UNUSED_PAD src0_sel:BYTE_0 src1_sel:DWORD
	v_sub_u16_sdwa v10, v52, v8 dst_sel:DWORD dst_unused:UNUSED_PAD src0_sel:DWORD src1_sel:BYTE_1
	v_lshrrev_b16_e32 v10, 1, v10
	v_and_b32_e32 v10, 0x7f, v10
	v_add_u32_e32 v9, 0x14a, v52
	v_add_u16_sdwa v8, v10, v8 dst_sel:DWORD dst_unused:UNUSED_PAD src0_sel:DWORD src1_sel:BYTE_1
	s_mov_b32 s4, 0xba2f
	v_add_u32_e32 v42, 0xa5, v52
	v_lshrrev_b16_e32 v49, 3, v8
	v_mul_u32_u24_sdwa v43, v9, s4 dst_sel:DWORD dst_unused:UNUSED_PAD src0_sel:WORD_0 src1_sel:DWORD
	v_mul_lo_u16_e32 v8, 11, v49
	v_mul_u32_u24_sdwa v44, v42, s4 dst_sel:DWORD dst_unused:UNUSED_PAD src0_sel:WORD_0 src1_sel:DWORD
	v_lshrrev_b32_e32 v68, 19, v43
	v_sub_u16_e32 v10, v52, v8
	v_mov_b32_e32 v8, 4
	v_lshrrev_b32_e32 v50, 19, v44
	v_mul_lo_u16_e32 v19, 11, v68
	v_add_u32_e32 v18, 0x1ef, v52
	v_lshlrev_b32_sdwa v51, v8, v10 dst_sel:DWORD dst_unused:UNUSED_PAD src0_sel:DWORD src1_sel:BYTE_0
	v_mul_lo_u16_e32 v10, 11, v50
	v_sub_u16_e32 v19, v9, v19
	v_sub_u16_e32 v10, v42, v10
	v_lshlrev_b32_e32 v69, 4, v19
	v_mul_u32_u24_sdwa v19, v18, s4 dst_sel:DWORD dst_unused:UNUSED_PAD src0_sel:WORD_0 src1_sel:DWORD
	s_waitcnt lgkmcnt(0)
	s_barrier
	v_lshlrev_b32_e32 v53, 4, v10
	global_load_dwordx4 v[10:13], v51, s[8:9]
	global_load_dwordx4 v[14:17], v53, s[8:9]
	v_lshrrev_b32_e32 v70, 19, v19
	v_mul_lo_u16_e32 v19, 11, v70
	v_sub_u16_e32 v22, v18, v19
	global_load_dwordx4 v[18:21], v69, s[8:9]
	v_lshlrev_b32_e32 v71, 4, v22
	global_load_dwordx4 v[22:25], v71, s[8:9]
	ds_read_b128 v[26:29], v136
	ds_read_b128 v[30:33], v136 offset:2640
	ds_read_b128 v[34:37], v136 offset:10560
	ds_read_b128 v[38:41], v136 offset:13200
	ds_read_b128 v[45:48], v136 offset:5280
	ds_read_b128 v[56:59], v136 offset:7920
	ds_read_b128 v[60:63], v136 offset:15840
	ds_read_b128 v[64:67], v136 offset:18480
	v_mul_u32_u24_e32 v50, 0x160, v50
	v_mul_u32_u24_e32 v68, 0x160, v68
	v_add3_u32 v53, 0, v50, v53
	v_mul_u32_u24_e32 v76, 0x160, v49
	v_add3_u32 v74, 0, v68, v69
	;; [unrolled: 2-line block ×3, first 2 shown]
	s_waitcnt vmcnt(0) lgkmcnt(0)
	s_barrier
	s_movk_i32 s4, 0x6e
	v_cmp_gt_u32_e32 vcc, s4, v52
	v_mul_f64 v[49:50], v[36:37], v[12:13]
	v_mul_f64 v[12:13], v[34:35], v[12:13]
	;; [unrolled: 1-line block ×8, first 2 shown]
	v_fma_f64 v[34:35], v[34:35], v[10:11], v[49:50]
	v_fma_f64 v[10:11], v[36:37], v[10:11], -v[12:13]
	v_fma_f64 v[12:13], v[38:39], v[14:15], v[68:69]
	v_fma_f64 v[36:37], v[40:41], v[14:15], -v[16:17]
	;; [unrolled: 2-line block ×4, first 2 shown]
	v_add_f64 v[14:15], v[26:27], -v[34:35]
	v_add_f64 v[16:17], v[28:29], -v[10:11]
	;; [unrolled: 1-line block ×8, first 2 shown]
	v_fma_f64 v[26:27], v[26:27], 2.0, -v[14:15]
	v_fma_f64 v[28:29], v[28:29], 2.0, -v[16:17]
	;; [unrolled: 1-line block ×8, first 2 shown]
	v_add3_u32 v45, 0, v76, v51
	ds_write_b128 v45, v[14:17] offset:176
	ds_write_b128 v45, v[26:29]
	ds_write_b128 v53, v[30:33]
	ds_write_b128 v53, v[18:21] offset:176
	ds_write_b128 v74, v[38:41]
	ds_write_b128 v74, v[34:37] offset:176
	;; [unrolled: 2-line block ×3, first 2 shown]
	s_waitcnt lgkmcnt(0)
	s_barrier
	ds_read_b128 v[14:17], v136
	ds_read_b128 v[18:21], v136 offset:2640
	ds_read_b128 v[26:29], v136 offset:7040
	;; [unrolled: 1-line block ×5, first 2 shown]
	s_and_saveexec_b64 s[4:5], vcc
	s_cbranch_execz .LBB0_15
; %bb.14:
	ds_read_b128 v[10:13], v136 offset:5280
	ds_read_b128 v[22:25], v136 offset:12320
	;; [unrolled: 1-line block ×3, first 2 shown]
.LBB0_15:
	s_or_b64 exec, exec, s[4:5]
	v_lshrrev_b32_e32 v51, 20, v44
	v_lshrrev_b16_e32 v45, 1, v52
	v_mul_lo_u16_e32 v44, 22, v51
	v_and_b32_e32 v45, 0x7f, v45
	v_sub_u16_e32 v53, v42, v44
	v_mul_lo_u16_e32 v45, 0xbb, v45
	v_lshlrev_b32_e32 v44, 5, v53
	v_lshrrev_b32_e32 v43, 20, v43
	v_lshrrev_b16_e32 v49, 11, v45
	global_load_dwordx4 v[45:48], v44, s[8:9] offset:192
	global_load_dwordx4 v[56:59], v44, s[8:9] offset:176
	v_mul_lo_u16_e32 v44, 22, v43
	v_sub_u16_e32 v44, v9, v44
	v_mul_lo_u16_e32 v50, 22, v49
	v_lshlrev_b32_e32 v9, 5, v44
	global_load_dwordx4 v[60:63], v9, s[8:9] offset:192
	global_load_dwordx4 v[64:67], v9, s[8:9] offset:176
	v_sub_u16_e32 v9, v52, v50
	v_mov_b32_e32 v50, 5
	v_lshlrev_b32_sdwa v50, v50, v9 dst_sel:DWORD dst_unused:UNUSED_PAD src0_sel:DWORD src1_sel:BYTE_0
	global_load_dwordx4 v[68:71], v50, s[8:9] offset:176
	global_load_dwordx4 v[72:75], v50, s[8:9] offset:192
	v_mul_u32_u24_e32 v50, 0x420, v51
	v_lshlrev_b32_e32 v51, 4, v53
	v_mul_u32_u24_e32 v53, 0x420, v49
	v_add3_u32 v51, 0, v50, v51
	v_lshlrev_b32_sdwa v84, v8, v9 dst_sel:DWORD dst_unused:UNUSED_PAD src0_sel:DWORD src1_sel:BYTE_0
	s_mov_b32 s4, 0xe8584caa
	s_mov_b32 s5, 0xbfebb67a
	s_mov_b32 s7, 0x3febb67a
	s_mov_b32 s6, s4
	s_waitcnt vmcnt(0) lgkmcnt(0)
	s_barrier
	v_mul_f64 v[8:9], v[36:37], v[58:59]
	v_mul_f64 v[49:50], v[34:35], v[58:59]
	;; [unrolled: 1-line block ×12, first 2 shown]
	v_fma_f64 v[8:9], v[34:35], v[56:57], v[8:9]
	v_fma_f64 v[34:35], v[36:37], v[56:57], -v[49:50]
	v_fma_f64 v[36:37], v[38:39], v[45:46], v[58:59]
	v_fma_f64 v[38:39], v[40:41], v[45:46], -v[47:48]
	;; [unrolled: 2-line block ×6, first 2 shown]
	v_add_f64 v[45:46], v[8:9], v[36:37]
	v_add_f64 v[47:48], v[34:35], -v[38:39]
	v_add_f64 v[49:50], v[20:21], v[34:35]
	v_add_f64 v[34:35], v[34:35], v[38:39]
	;; [unrolled: 1-line block ×5, first 2 shown]
	v_add_f64 v[72:73], v[28:29], -v[32:33]
	v_add_f64 v[74:75], v[16:17], v[28:29]
	v_add_f64 v[28:29], v[28:29], v[32:33]
	;; [unrolled: 1-line block ×3, first 2 shown]
	v_add_f64 v[56:57], v[8:9], -v[36:37]
	v_add_f64 v[8:9], v[10:11], v[22:23]
	v_add_f64 v[60:61], v[24:25], -v[6:7]
	v_add_f64 v[62:63], v[12:13], v[24:25]
	;; [unrolled: 2-line block ×3, first 2 shown]
	v_add_f64 v[76:77], v[26:27], -v[30:31]
	v_fma_f64 v[18:19], v[45:46], -0.5, v[18:19]
	v_add_f64 v[24:25], v[49:50], v[38:39]
	v_fma_f64 v[20:21], v[34:35], -0.5, v[20:21]
	v_fma_f64 v[45:46], v[58:59], -0.5, v[10:11]
	;; [unrolled: 1-line block ×5, first 2 shown]
	v_add_f64 v[22:23], v[40:41], v[36:37]
	v_add_f64 v[8:9], v[8:9], v[4:5]
	;; [unrolled: 1-line block ×5, first 2 shown]
	v_fma_f64 v[30:31], v[47:48], s[4:5], v[18:19]
	v_fma_f64 v[4:5], v[47:48], s[6:7], v[18:19]
	;; [unrolled: 1-line block ×12, first 2 shown]
	v_add3_u32 v20, 0, v53, v84
	ds_write_b128 v20, v[26:29]
	ds_write_b128 v20, v[34:37] offset:352
	ds_write_b128 v20, v[38:41] offset:704
	ds_write_b128 v51, v[22:25]
	ds_write_b128 v51, v[30:33] offset:352
	ds_write_b128 v51, v[4:7] offset:704
	s_and_saveexec_b64 s[4:5], vcc
	s_cbranch_execz .LBB0_17
; %bb.16:
	v_mul_lo_u16_e32 v20, 0x42, v43
	v_lshlrev_b32_e32 v21, 4, v44
	v_lshlrev_b32_e32 v20, 4, v20
	v_add3_u32 v20, 0, v21, v20
	ds_write_b128 v20, v[8:11]
	ds_write_b128 v20, v[12:15] offset:352
	ds_write_b128 v20, v[16:19] offset:704
.LBB0_17:
	s_or_b64 exec, exec, s[4:5]
	s_waitcnt lgkmcnt(0)
	s_barrier
	ds_read_b128 v[20:23], v136
	ds_read_b128 v[36:39], v136 offset:4224
	ds_read_b128 v[32:35], v136 offset:8448
	;; [unrolled: 1-line block ×4, first 2 shown]
	s_movk_i32 s4, 0x63
	v_cmp_gt_u32_e32 vcc, s4, v52
	s_and_saveexec_b64 s[4:5], vcc
	s_cbranch_execz .LBB0_19
; %bb.18:
	ds_read_b128 v[4:7], v136 offset:2640
	ds_read_b128 v[8:11], v136 offset:6864
	;; [unrolled: 1-line block ×5, first 2 shown]
.LBB0_19:
	s_or_b64 exec, exec, s[4:5]
	s_movk_i32 s4, 0xf9
	v_mul_lo_u16_sdwa v40, v52, s4 dst_sel:DWORD dst_unused:UNUSED_PAD src0_sel:BYTE_0 src1_sel:DWORD
	v_lshrrev_b16_e32 v51, 14, v40
	v_mul_lo_u16_e32 v40, 0x42, v51
	v_sub_u16_e32 v53, v52, v40
	v_mov_b32_e32 v40, 6
	v_lshlrev_b32_sdwa v40, v40, v53 dst_sel:DWORD dst_unused:UNUSED_PAD src0_sel:DWORD src1_sel:BYTE_0
	global_load_dwordx4 v[43:46], v40, s[8:9] offset:880
	global_load_dwordx4 v[47:50], v40, s[8:9] offset:896
	;; [unrolled: 1-line block ×4, first 2 shown]
	v_mov_b32_e32 v70, 4
	v_lshlrev_b32_sdwa v53, v70, v53 dst_sel:DWORD dst_unused:UNUSED_PAD src0_sel:DWORD src1_sel:BYTE_0
	s_mov_b32 s10, 0x134454ff
	s_mov_b32 s11, 0xbfee6f0e
	;; [unrolled: 1-line block ×10, first 2 shown]
	v_mul_u32_u24_e32 v51, 0x14a0, v51
	s_waitcnt vmcnt(0) lgkmcnt(0)
	s_barrier
	v_mul_f64 v[40:41], v[38:39], v[45:46]
	v_mul_f64 v[45:46], v[36:37], v[45:46]
	;; [unrolled: 1-line block ×8, first 2 shown]
	v_fma_f64 v[36:37], v[36:37], v[43:44], v[40:41]
	v_fma_f64 v[38:39], v[38:39], v[43:44], -v[45:46]
	v_fma_f64 v[32:33], v[32:33], v[47:48], v[64:65]
	v_fma_f64 v[34:35], v[34:35], v[47:48], -v[49:50]
	;; [unrolled: 2-line block ×3, first 2 shown]
	v_fma_f64 v[30:31], v[30:31], v[56:57], -v[58:59]
	v_fma_f64 v[24:25], v[24:25], v[60:61], v[62:63]
	v_add_f64 v[40:41], v[20:21], v[36:37]
	v_add_f64 v[64:65], v[22:23], v[38:39]
	v_add_f64 v[49:50], v[36:37], -v[32:33]
	v_add_f64 v[60:61], v[32:33], -v[36:37]
	v_add_f64 v[43:44], v[32:33], v[28:29]
	v_add_f64 v[74:75], v[38:39], v[26:27]
	;; [unrolled: 1-line block ×3, first 2 shown]
	v_add_f64 v[56:57], v[24:25], -v[28:29]
	v_add_f64 v[58:59], v[36:37], v[24:25]
	v_add_f64 v[45:46], v[38:39], -v[26:27]
	v_add_f64 v[47:48], v[34:35], -v[30:31]
	;; [unrolled: 1-line block ×6, first 2 shown]
	v_add_f64 v[32:33], v[40:41], v[32:33]
	v_fma_f64 v[40:41], v[43:44], -0.5, v[20:21]
	v_add_f64 v[43:44], v[49:50], v[56:57]
	v_add_f64 v[34:35], v[64:65], v[34:35]
	v_fma_f64 v[56:57], v[66:67], -0.5, v[22:23]
	v_add_f64 v[62:63], v[28:29], -v[24:25]
	v_fma_f64 v[20:21], v[58:59], -0.5, v[20:21]
	v_fma_f64 v[22:23], v[74:75], -0.5, v[22:23]
	v_add_f64 v[72:73], v[26:27], -v[30:31]
	v_add_f64 v[76:77], v[30:31], -v[26:27]
	v_add_f64 v[28:29], v[32:33], v[28:29]
	v_fma_f64 v[32:33], v[45:46], s[10:11], v[40:41]
	v_add_f64 v[30:31], v[34:35], v[30:31]
	v_fma_f64 v[34:35], v[36:37], s[14:15], v[56:57]
	;; [unrolled: 2-line block ×3, first 2 shown]
	v_fma_f64 v[64:65], v[68:69], s[10:11], v[22:23]
	v_fma_f64 v[40:41], v[45:46], s[14:15], v[40:41]
	;; [unrolled: 1-line block ×5, first 2 shown]
	v_add_f64 v[58:59], v[70:71], v[72:73]
	v_add_f64 v[20:21], v[28:29], v[24:25]
	v_fma_f64 v[24:25], v[47:48], s[6:7], v[32:33]
	v_add_f64 v[22:23], v[30:31], v[26:27]
	v_fma_f64 v[26:27], v[68:69], s[12:13], v[34:35]
	;; [unrolled: 2-line block ×3, first 2 shown]
	v_fma_f64 v[30:31], v[36:37], s[12:13], v[64:65]
	v_fma_f64 v[28:29], v[47:48], s[12:13], v[40:41]
	;; [unrolled: 1-line block ×13, first 2 shown]
	v_add3_u32 v40, 0, v51, v53
	ds_write_b128 v40, v[20:23]
	ds_write_b128 v40, v[24:27] offset:1056
	ds_write_b128 v40, v[32:35] offset:2112
	;; [unrolled: 1-line block ×4, first 2 shown]
	s_and_saveexec_b64 s[16:17], vcc
	s_cbranch_execz .LBB0_21
; %bb.20:
	s_mov_b32 s18, 0xf83f
	v_mul_u32_u24_sdwa v20, v42, s18 dst_sel:DWORD dst_unused:UNUSED_PAD src0_sel:WORD_0 src1_sel:DWORD
	v_lshrrev_b32_e32 v44, 22, v20
	v_mul_lo_u16_e32 v20, 0x42, v44
	v_sub_u16_e32 v53, v42, v20
	v_lshlrev_b32_e32 v36, 6, v53
	global_load_dwordx4 v[20:23], v36, s[8:9] offset:896
	global_load_dwordx4 v[24:27], v36, s[8:9] offset:880
	;; [unrolled: 1-line block ×4, first 2 shown]
	v_mul_lo_u16_e32 v56, 0x14a, v44
	s_waitcnt vmcnt(3)
	v_mul_f64 v[36:37], v[12:13], v[22:23]
	s_waitcnt vmcnt(2)
	v_mul_f64 v[38:39], v[8:9], v[26:27]
	;; [unrolled: 2-line block ×4, first 2 shown]
	v_mul_f64 v[22:23], v[14:15], v[22:23]
	v_mul_f64 v[30:31], v[18:19], v[30:31]
	;; [unrolled: 1-line block ×4, first 2 shown]
	v_fma_f64 v[14:15], v[14:15], v[20:21], -v[36:37]
	v_fma_f64 v[10:11], v[10:11], v[24:25], -v[38:39]
	v_fma_f64 v[18:19], v[18:19], v[28:29], -v[40:41]
	v_fma_f64 v[2:3], v[2:3], v[32:33], -v[42:43]
	v_fma_f64 v[12:13], v[12:13], v[20:21], v[22:23]
	v_fma_f64 v[16:17], v[16:17], v[28:29], v[30:31]
	;; [unrolled: 1-line block ×4, first 2 shown]
	v_add_f64 v[20:21], v[14:15], -v[10:11]
	v_add_f64 v[30:31], v[10:11], -v[14:15]
	;; [unrolled: 1-line block ×3, first 2 shown]
	v_add_f64 v[26:27], v[10:11], v[2:3]
	v_add_f64 v[32:33], v[2:3], -v[18:19]
	v_add_f64 v[34:35], v[14:15], v[18:19]
	v_add_f64 v[42:43], v[8:9], v[0:1]
	;; [unrolled: 1-line block ×4, first 2 shown]
	v_add_f64 v[28:29], v[8:9], -v[0:1]
	v_add_f64 v[38:39], v[12:13], -v[8:9]
	;; [unrolled: 1-line block ×3, first 2 shown]
	v_add_f64 v[8:9], v[4:5], v[8:9]
	v_add_f64 v[24:25], v[12:13], -v[16:17]
	v_add_f64 v[40:41], v[16:17], -v[0:1]
	;; [unrolled: 1-line block ×3, first 2 shown]
	v_add_f64 v[20:21], v[20:21], v[22:23]
	v_fma_f64 v[22:23], v[26:27], -0.5, v[6:7]
	v_add_f64 v[26:27], v[30:31], v[32:33]
	v_fma_f64 v[6:7], v[34:35], -0.5, v[6:7]
	v_fma_f64 v[32:33], v[42:43], -0.5, v[4:5]
	;; [unrolled: 1-line block ×3, first 2 shown]
	v_add_f64 v[44:45], v[14:15], -v[18:19]
	v_add_f64 v[14:15], v[36:37], v[14:15]
	v_add_f64 v[8:9], v[8:9], v[12:13]
	v_add_f64 v[48:49], v[0:1], -v[16:17]
	v_add_f64 v[30:31], v[38:39], v[40:41]
	v_fma_f64 v[12:13], v[24:25], s[14:15], v[22:23]
	v_fma_f64 v[22:23], v[24:25], s[10:11], v[22:23]
	;; [unrolled: 1-line block ×6, first 2 shown]
	v_add_f64 v[14:15], v[14:15], v[18:19]
	v_fma_f64 v[18:19], v[44:45], s[10:11], v[32:33]
	v_fma_f64 v[32:33], v[44:45], s[14:15], v[32:33]
	v_add_f64 v[8:9], v[8:9], v[16:17]
	v_add_f64 v[34:35], v[46:47], v[48:49]
	v_fma_f64 v[16:17], v[28:29], s[12:13], v[22:23]
	v_fma_f64 v[22:23], v[24:25], s[6:7], v[36:37]
	;; [unrolled: 1-line block ×8, first 2 shown]
	v_add_f64 v[2:3], v[14:15], v[2:3]
	v_add_f64 v[0:1], v[8:9], v[0:1]
	v_fma_f64 v[10:11], v[20:21], s[4:5], v[16:17]
	v_fma_f64 v[18:19], v[26:27], s[4:5], v[24:25]
	;; [unrolled: 1-line block ×8, first 2 shown]
	v_lshlrev_b32_e32 v20, 4, v56
	v_lshlrev_b32_e32 v21, 4, v53
	v_add3_u32 v20, 0, v21, v20
	ds_write_b128 v20, v[0:3]
	ds_write_b128 v20, v[16:19] offset:1056
	ds_write_b128 v20, v[8:11] offset:2112
	ds_write_b128 v20, v[4:7] offset:3168
	ds_write_b128 v20, v[12:15] offset:4224
.LBB0_21:
	s_or_b64 exec, exec, s[16:17]
	v_mul_u32_u24_e32 v0, 3, v52
	v_lshlrev_b32_e32 v0, 4, v0
	v_mov_b32_e32 v1, s9
	v_add_co_u32_e32 v16, vcc, s8, v0
	v_addc_co_u32_e32 v17, vcc, 0, v1, vcc
	s_movk_i32 s4, 0x13f0
	v_add_co_u32_e32 v12, vcc, s4, v16
	v_addc_co_u32_e32 v13, vcc, 0, v17, vcc
	s_movk_i32 s4, 0x1000
	;; [unrolled: 3-line block ×3, first 2 shown]
	s_waitcnt lgkmcnt(0)
	s_barrier
	global_load_dwordx4 v[0:3], v[14:15], off offset:1008
	global_load_dwordx4 v[4:7], v[12:13], off offset:32
	;; [unrolled: 1-line block ×3, first 2 shown]
	v_add_co_u32_e32 v12, vcc, s5, v16
	s_movk_i32 s4, 0x32e0
	v_addc_co_u32_e32 v13, vcc, 0, v17, vcc
	v_add_co_u32_e32 v24, vcc, s4, v16
	v_addc_co_u32_e32 v25, vcc, 0, v17, vcc
	global_load_dwordx4 v[12:15], v[12:13], off offset:736
	s_nop 0
	global_load_dwordx4 v[16:19], v[24:25], off offset:16
	global_load_dwordx4 v[20:23], v[24:25], off offset:32
	ds_read_b128 v[24:27], v136
	ds_read_b128 v[28:31], v136 offset:2640
	ds_read_b128 v[32:35], v136 offset:5280
	;; [unrolled: 1-line block ×7, first 2 shown]
	s_waitcnt vmcnt(0) lgkmcnt(0)
	s_barrier
	s_add_u32 s6, s8, 0x51d0
	v_mov_b32_e32 v53, 0
	s_addc_u32 s7, s9, 0
	v_cmp_ne_u32_e32 vcc, 0, v52
	v_mul_f64 v[60:61], v[34:35], v[2:3]
	v_mul_f64 v[2:3], v[32:33], v[2:3]
	;; [unrolled: 1-line block ×6, first 2 shown]
	v_fma_f64 v[32:33], v[32:33], v[0:1], v[60:61]
	v_fma_f64 v[0:1], v[34:35], v[0:1], -v[2:3]
	v_fma_f64 v[2:3], v[40:41], v[8:9], v[62:63]
	v_fma_f64 v[8:9], v[42:43], v[8:9], -v[10:11]
	v_mul_f64 v[66:67], v[38:39], v[14:15]
	v_mul_f64 v[14:15], v[36:37], v[14:15]
	;; [unrolled: 1-line block ×6, first 2 shown]
	v_fma_f64 v[10:11], v[48:49], v[4:5], v[64:65]
	v_fma_f64 v[4:5], v[50:51], v[4:5], -v[6:7]
	v_fma_f64 v[6:7], v[36:37], v[12:13], v[66:67]
	v_fma_f64 v[12:13], v[38:39], v[12:13], -v[14:15]
	;; [unrolled: 2-line block ×4, first 2 shown]
	v_add_f64 v[22:23], v[24:25], -v[2:3]
	v_add_f64 v[34:35], v[26:27], -v[8:9]
	;; [unrolled: 1-line block ×8, first 2 shown]
	v_fma_f64 v[24:25], v[24:25], 2.0, -v[22:23]
	v_fma_f64 v[26:27], v[26:27], 2.0, -v[34:35]
	;; [unrolled: 1-line block ×8, first 2 shown]
	v_add_f64 v[0:1], v[22:23], v[4:5]
	v_add_f64 v[2:3], v[34:35], -v[2:3]
	v_add_f64 v[4:5], v[36:37], v[10:11]
	v_add_f64 v[6:7], v[38:39], -v[8:9]
	v_add_f64 v[8:9], v[24:25], -v[14:15]
	;; [unrolled: 1-line block ×5, first 2 shown]
	v_fma_f64 v[16:17], v[22:23], 2.0, -v[0:1]
	v_fma_f64 v[18:19], v[34:35], 2.0, -v[2:3]
	;; [unrolled: 1-line block ×8, first 2 shown]
	ds_write_b128 v136, v[0:3] offset:15840
	ds_write_b128 v136, v[4:7] offset:18480
	;; [unrolled: 1-line block ×6, first 2 shown]
	ds_write_b128 v136, v[24:27]
	ds_write_b128 v136, v[28:31] offset:2640
	s_waitcnt lgkmcnt(0)
	s_barrier
	ds_read_b128 v[4:7], v136
	v_lshlrev_b32_e32 v0, 4, v52
	v_sub_u32_e32 v14, 0, v0
                                        ; implicit-def: $vgpr0_vgpr1
                                        ; implicit-def: $vgpr8_vgpr9
                                        ; implicit-def: $vgpr10_vgpr11
                                        ; implicit-def: $vgpr12_vgpr13
	s_and_saveexec_b64 s[4:5], vcc
	s_xor_b64 s[4:5], exec, s[4:5]
	s_cbranch_execz .LBB0_23
; %bb.22:
	v_lshlrev_b64 v[0:1], 4, v[52:53]
	v_mov_b32_e32 v2, s7
	v_add_co_u32_e32 v0, vcc, s6, v0
	v_addc_co_u32_e32 v1, vcc, v2, v1, vcc
	global_load_dwordx4 v[15:18], v[0:1], off
	ds_read_b128 v[0:3], v14 offset:21120
	s_waitcnt lgkmcnt(0)
	v_add_f64 v[8:9], v[4:5], -v[0:1]
	v_add_f64 v[10:11], v[6:7], v[2:3]
	v_add_f64 v[2:3], v[6:7], -v[2:3]
	v_add_f64 v[0:1], v[4:5], v[0:1]
	v_mul_f64 v[6:7], v[8:9], 0.5
	v_mul_f64 v[4:5], v[10:11], 0.5
	;; [unrolled: 1-line block ×3, first 2 shown]
	s_waitcnt vmcnt(0)
	v_mul_f64 v[8:9], v[6:7], v[17:18]
	v_fma_f64 v[10:11], v[4:5], v[17:18], v[2:3]
	v_fma_f64 v[2:3], v[4:5], v[17:18], -v[2:3]
	v_fma_f64 v[12:13], v[0:1], 0.5, v[8:9]
	v_fma_f64 v[0:1], v[0:1], 0.5, -v[8:9]
	v_fma_f64 v[10:11], -v[15:16], v[6:7], v[10:11]
	v_fma_f64 v[2:3], -v[15:16], v[6:7], v[2:3]
	v_fma_f64 v[8:9], v[4:5], v[15:16], v[12:13]
	v_mov_b32_e32 v12, v52
	v_fma_f64 v[0:1], -v[4:5], v[15:16], v[0:1]
	v_mov_b32_e32 v13, v53
                                        ; implicit-def: $vgpr4_vgpr5
.LBB0_23:
	s_andn2_saveexec_b64 s[4:5], s[4:5]
	s_cbranch_execz .LBB0_25
; %bb.24:
	s_waitcnt lgkmcnt(0)
	v_add_f64 v[8:9], v[4:5], v[6:7]
	v_add_f64 v[0:1], v[4:5], -v[6:7]
	v_mov_b32_e32 v4, 0
	ds_read_b64 v[2:3], v4 offset:10568
	v_mov_b32_e32 v10, 0
	v_mov_b32_e32 v12, 0
	;; [unrolled: 1-line block ×4, first 2 shown]
	s_waitcnt lgkmcnt(0)
	v_xor_b32_e32 v3, 0x80000000, v3
	ds_write_b64 v4, v[2:3] offset:10568
	v_mov_b32_e32 v2, v10
	v_mov_b32_e32 v3, v11
.LBB0_25:
	s_or_b64 exec, exec, s[4:5]
	s_waitcnt lgkmcnt(0)
	v_lshlrev_b64 v[4:5], 4, v[12:13]
	v_mov_b32_e32 v7, s7
	v_add_co_u32_e32 v6, vcc, s6, v4
	v_addc_co_u32_e32 v7, vcc, v7, v5, vcc
	global_load_dwordx4 v[15:18], v[6:7], off offset:2640
	s_movk_i32 s4, 0x1000
	v_add_co_u32_e32 v12, vcc, s4, v6
	v_addc_co_u32_e32 v13, vcc, 0, v7, vcc
	global_load_dwordx4 v[19:22], v[12:13], off offset:1184
	ds_write2_b64 v136, v[8:9], v[10:11] offset1:1
	ds_write_b128 v14, v[0:3] offset:21120
	ds_read_b128 v[0:3], v136 offset:2640
	ds_read_b128 v[6:9], v14 offset:18480
	s_waitcnt lgkmcnt(0)
	v_add_f64 v[10:11], v[0:1], -v[6:7]
	v_add_f64 v[23:24], v[2:3], v[8:9]
	v_add_f64 v[2:3], v[2:3], -v[8:9]
	v_add_f64 v[0:1], v[0:1], v[6:7]
	v_mul_f64 v[8:9], v[10:11], 0.5
	v_mul_f64 v[10:11], v[23:24], 0.5
	;; [unrolled: 1-line block ×3, first 2 shown]
	s_waitcnt vmcnt(1)
	v_mul_f64 v[6:7], v[8:9], v[17:18]
	v_fma_f64 v[23:24], v[10:11], v[17:18], v[2:3]
	v_fma_f64 v[17:18], v[10:11], v[17:18], -v[2:3]
	v_fma_f64 v[25:26], v[0:1], 0.5, v[6:7]
	v_fma_f64 v[6:7], v[0:1], 0.5, -v[6:7]
	global_load_dwordx4 v[0:3], v[12:13], off offset:3824
	v_fma_f64 v[12:13], -v[15:16], v[8:9], v[23:24]
	v_fma_f64 v[8:9], -v[15:16], v[8:9], v[17:18]
	v_fma_f64 v[17:18], v[10:11], v[15:16], v[25:26]
	v_fma_f64 v[6:7], -v[10:11], v[15:16], v[6:7]
	v_add_u32_e32 v10, 0x800, v136
	ds_write2_b64 v10, v[17:18], v[12:13] offset0:74 offset1:75
	ds_write_b128 v14, v[6:9] offset:18480
	ds_read_b128 v[6:9], v136 offset:5280
	ds_read_b128 v[10:13], v14 offset:15840
	s_waitcnt lgkmcnt(0)
	v_add_f64 v[15:16], v[6:7], -v[10:11]
	v_add_f64 v[17:18], v[8:9], v[12:13]
	v_add_f64 v[8:9], v[8:9], -v[12:13]
	v_add_f64 v[6:7], v[6:7], v[10:11]
	v_mul_f64 v[12:13], v[15:16], 0.5
	v_mul_f64 v[15:16], v[17:18], 0.5
	;; [unrolled: 1-line block ×3, first 2 shown]
	s_waitcnt vmcnt(1)
	v_mul_f64 v[10:11], v[12:13], v[21:22]
	v_fma_f64 v[17:18], v[15:16], v[21:22], v[8:9]
	v_fma_f64 v[8:9], v[15:16], v[21:22], -v[8:9]
	v_fma_f64 v[21:22], v[6:7], 0.5, v[10:11]
	v_fma_f64 v[6:7], v[6:7], 0.5, -v[10:11]
	v_fma_f64 v[10:11], -v[19:20], v[12:13], v[17:18]
	v_fma_f64 v[8:9], -v[19:20], v[12:13], v[8:9]
	v_fma_f64 v[12:13], v[15:16], v[19:20], v[21:22]
	v_fma_f64 v[6:7], -v[15:16], v[19:20], v[6:7]
	v_add_u32_e32 v15, 0x1000, v136
	ds_write2_b64 v15, v[12:13], v[10:11] offset0:148 offset1:149
	ds_write_b128 v14, v[6:9] offset:15840
	ds_read_b128 v[6:9], v136 offset:7920
	ds_read_b128 v[10:13], v14 offset:13200
	s_waitcnt lgkmcnt(0)
	v_add_f64 v[15:16], v[6:7], -v[10:11]
	v_add_f64 v[17:18], v[8:9], v[12:13]
	v_add_f64 v[8:9], v[8:9], -v[12:13]
	v_add_f64 v[6:7], v[6:7], v[10:11]
	v_mul_f64 v[12:13], v[15:16], 0.5
	v_mul_f64 v[15:16], v[17:18], 0.5
	v_mul_f64 v[8:9], v[8:9], 0.5
	s_waitcnt vmcnt(0)
	v_mul_f64 v[10:11], v[12:13], v[2:3]
	v_fma_f64 v[17:18], v[15:16], v[2:3], v[8:9]
	v_fma_f64 v[2:3], v[15:16], v[2:3], -v[8:9]
	v_fma_f64 v[8:9], v[6:7], 0.5, v[10:11]
	v_fma_f64 v[6:7], v[6:7], 0.5, -v[10:11]
	v_fma_f64 v[10:11], -v[0:1], v[12:13], v[17:18]
	v_fma_f64 v[2:3], -v[0:1], v[12:13], v[2:3]
	v_fma_f64 v[8:9], v[15:16], v[0:1], v[8:9]
	v_fma_f64 v[0:1], -v[15:16], v[0:1], v[6:7]
	v_add_u32_e32 v6, 0x1800, v136
	ds_write2_b64 v6, v[8:9], v[10:11] offset0:222 offset1:223
	ds_write_b128 v14, v[0:3] offset:13200
	s_waitcnt lgkmcnt(0)
	s_barrier
	s_and_saveexec_b64 s[6:7], s[0:1]
	s_cbranch_execz .LBB0_28
; %bb.26:
	ds_read_b128 v[6:9], v136
	ds_read_b128 v[10:13], v136 offset:2640
	v_mov_b32_e32 v0, s3
	v_add_co_u32_e32 v1, vcc, s2, v54
	v_addc_co_u32_e32 v0, vcc, v0, v55, vcc
	v_add_co_u32_e32 v14, vcc, v1, v4
	v_addc_co_u32_e32 v15, vcc, v0, v5, vcc
	s_waitcnt lgkmcnt(1)
	global_store_dwordx4 v[14:15], v[6:9], off
	s_waitcnt lgkmcnt(0)
	global_store_dwordx4 v[14:15], v[10:13], off offset:2640
	ds_read_b128 v[2:5], v136 offset:5280
	ds_read_b128 v[6:9], v136 offset:7920
	v_add_co_u32_e32 v10, vcc, s4, v14
	v_addc_co_u32_e32 v11, vcc, 0, v15, vcc
	s_waitcnt lgkmcnt(1)
	global_store_dwordx4 v[10:11], v[2:5], off offset:1184
	s_waitcnt lgkmcnt(0)
	global_store_dwordx4 v[10:11], v[6:9], off offset:3824
	ds_read_b128 v[2:5], v136 offset:10560
	ds_read_b128 v[6:9], v136 offset:13200
	s_movk_i32 s0, 0x2000
	v_add_co_u32_e32 v10, vcc, s0, v14
	v_addc_co_u32_e32 v11, vcc, 0, v15, vcc
	s_waitcnt lgkmcnt(1)
	global_store_dwordx4 v[10:11], v[2:5], off offset:2368
	ds_read_b128 v[2:5], v136 offset:15840
	v_add_co_u32_e32 v10, vcc, 0x3000, v14
	v_addc_co_u32_e32 v11, vcc, 0, v15, vcc
	s_waitcnt lgkmcnt(1)
	global_store_dwordx4 v[10:11], v[6:9], off offset:912
	ds_read_b128 v[6:9], v136 offset:18480
	s_waitcnt lgkmcnt(1)
	global_store_dwordx4 v[10:11], v[2:5], off offset:3552
	s_movk_i32 s0, 0xa4
	v_add_co_u32_e32 v2, vcc, 0x4000, v14
	v_addc_co_u32_e32 v3, vcc, 0, v15, vcc
	v_cmp_eq_u32_e32 vcc, s0, v52
	s_waitcnt lgkmcnt(0)
	global_store_dwordx4 v[2:3], v[6:9], off offset:2096
	s_and_b64 exec, exec, vcc
	s_cbranch_execz .LBB0_28
; %bb.27:
	v_mov_b32_e32 v2, 0
	ds_read_b128 v[2:5], v2 offset:21120
	v_add_co_u32_e32 v6, vcc, 0x5000, v1
	v_addc_co_u32_e32 v7, vcc, 0, v0, vcc
	s_waitcnt lgkmcnt(0)
	global_store_dwordx4 v[6:7], v[2:5], off offset:640
.LBB0_28:
	s_endpgm
	.section	.rodata,"a",@progbits
	.p2align	6, 0x0
	.amdhsa_kernel fft_rtc_back_len1320_factors_11_2_3_5_4_wgs_165_tpt_165_dp_ip_CI_unitstride_sbrr_R2C_dirReg
		.amdhsa_group_segment_fixed_size 0
		.amdhsa_private_segment_fixed_size 0
		.amdhsa_kernarg_size 88
		.amdhsa_user_sgpr_count 6
		.amdhsa_user_sgpr_private_segment_buffer 1
		.amdhsa_user_sgpr_dispatch_ptr 0
		.amdhsa_user_sgpr_queue_ptr 0
		.amdhsa_user_sgpr_kernarg_segment_ptr 1
		.amdhsa_user_sgpr_dispatch_id 0
		.amdhsa_user_sgpr_flat_scratch_init 0
		.amdhsa_user_sgpr_private_segment_size 0
		.amdhsa_uses_dynamic_stack 0
		.amdhsa_system_sgpr_private_segment_wavefront_offset 0
		.amdhsa_system_sgpr_workgroup_id_x 1
		.amdhsa_system_sgpr_workgroup_id_y 0
		.amdhsa_system_sgpr_workgroup_id_z 0
		.amdhsa_system_sgpr_workgroup_info 0
		.amdhsa_system_vgpr_workitem_id 0
		.amdhsa_next_free_vgpr 219
		.amdhsa_next_free_sgpr 36
		.amdhsa_reserve_vcc 1
		.amdhsa_reserve_flat_scratch 0
		.amdhsa_float_round_mode_32 0
		.amdhsa_float_round_mode_16_64 0
		.amdhsa_float_denorm_mode_32 3
		.amdhsa_float_denorm_mode_16_64 3
		.amdhsa_dx10_clamp 1
		.amdhsa_ieee_mode 1
		.amdhsa_fp16_overflow 0
		.amdhsa_exception_fp_ieee_invalid_op 0
		.amdhsa_exception_fp_denorm_src 0
		.amdhsa_exception_fp_ieee_div_zero 0
		.amdhsa_exception_fp_ieee_overflow 0
		.amdhsa_exception_fp_ieee_underflow 0
		.amdhsa_exception_fp_ieee_inexact 0
		.amdhsa_exception_int_div_zero 0
	.end_amdhsa_kernel
	.text
.Lfunc_end0:
	.size	fft_rtc_back_len1320_factors_11_2_3_5_4_wgs_165_tpt_165_dp_ip_CI_unitstride_sbrr_R2C_dirReg, .Lfunc_end0-fft_rtc_back_len1320_factors_11_2_3_5_4_wgs_165_tpt_165_dp_ip_CI_unitstride_sbrr_R2C_dirReg
                                        ; -- End function
	.section	.AMDGPU.csdata,"",@progbits
; Kernel info:
; codeLenInByte = 9488
; NumSgprs: 40
; NumVgprs: 219
; ScratchSize: 0
; MemoryBound: 0
; FloatMode: 240
; IeeeMode: 1
; LDSByteSize: 0 bytes/workgroup (compile time only)
; SGPRBlocks: 4
; VGPRBlocks: 54
; NumSGPRsForWavesPerEU: 40
; NumVGPRsForWavesPerEU: 219
; Occupancy: 1
; WaveLimiterHint : 1
; COMPUTE_PGM_RSRC2:SCRATCH_EN: 0
; COMPUTE_PGM_RSRC2:USER_SGPR: 6
; COMPUTE_PGM_RSRC2:TRAP_HANDLER: 0
; COMPUTE_PGM_RSRC2:TGID_X_EN: 1
; COMPUTE_PGM_RSRC2:TGID_Y_EN: 0
; COMPUTE_PGM_RSRC2:TGID_Z_EN: 0
; COMPUTE_PGM_RSRC2:TIDIG_COMP_CNT: 0
	.type	__hip_cuid_df2d802735b1d6a3,@object ; @__hip_cuid_df2d802735b1d6a3
	.section	.bss,"aw",@nobits
	.globl	__hip_cuid_df2d802735b1d6a3
__hip_cuid_df2d802735b1d6a3:
	.byte	0                               ; 0x0
	.size	__hip_cuid_df2d802735b1d6a3, 1

	.ident	"AMD clang version 19.0.0git (https://github.com/RadeonOpenCompute/llvm-project roc-6.4.0 25133 c7fe45cf4b819c5991fe208aaa96edf142730f1d)"
	.section	".note.GNU-stack","",@progbits
	.addrsig
	.addrsig_sym __hip_cuid_df2d802735b1d6a3
	.amdgpu_metadata
---
amdhsa.kernels:
  - .args:
      - .actual_access:  read_only
        .address_space:  global
        .offset:         0
        .size:           8
        .value_kind:     global_buffer
      - .offset:         8
        .size:           8
        .value_kind:     by_value
      - .actual_access:  read_only
        .address_space:  global
        .offset:         16
        .size:           8
        .value_kind:     global_buffer
      - .actual_access:  read_only
        .address_space:  global
        .offset:         24
        .size:           8
        .value_kind:     global_buffer
      - .offset:         32
        .size:           8
        .value_kind:     by_value
      - .actual_access:  read_only
        .address_space:  global
        .offset:         40
        .size:           8
        .value_kind:     global_buffer
      - .actual_access:  read_only
        .address_space:  global
        .offset:         48
        .size:           8
        .value_kind:     global_buffer
      - .offset:         56
        .size:           4
        .value_kind:     by_value
      - .actual_access:  read_only
        .address_space:  global
        .offset:         64
        .size:           8
        .value_kind:     global_buffer
      - .actual_access:  read_only
        .address_space:  global
        .offset:         72
        .size:           8
        .value_kind:     global_buffer
      - .address_space:  global
        .offset:         80
        .size:           8
        .value_kind:     global_buffer
    .group_segment_fixed_size: 0
    .kernarg_segment_align: 8
    .kernarg_segment_size: 88
    .language:       OpenCL C
    .language_version:
      - 2
      - 0
    .max_flat_workgroup_size: 165
    .name:           fft_rtc_back_len1320_factors_11_2_3_5_4_wgs_165_tpt_165_dp_ip_CI_unitstride_sbrr_R2C_dirReg
    .private_segment_fixed_size: 0
    .sgpr_count:     40
    .sgpr_spill_count: 0
    .symbol:         fft_rtc_back_len1320_factors_11_2_3_5_4_wgs_165_tpt_165_dp_ip_CI_unitstride_sbrr_R2C_dirReg.kd
    .uniform_work_group_size: 1
    .uses_dynamic_stack: false
    .vgpr_count:     219
    .vgpr_spill_count: 0
    .wavefront_size: 64
amdhsa.target:   amdgcn-amd-amdhsa--gfx906
amdhsa.version:
  - 1
  - 2
...

	.end_amdgpu_metadata
